;; amdgpu-corpus repo=ROCm/rocFFT kind=compiled arch=gfx1201 opt=O3
	.text
	.amdgcn_target "amdgcn-amd-amdhsa--gfx1201"
	.amdhsa_code_object_version 6
	.protected	fft_rtc_back_len200_factors_5_8_5_wgs_400_tpt_40_dp_ip_CI_sbcc_twdbase8_3step_dirReg ; -- Begin function fft_rtc_back_len200_factors_5_8_5_wgs_400_tpt_40_dp_ip_CI_sbcc_twdbase8_3step_dirReg
	.globl	fft_rtc_back_len200_factors_5_8_5_wgs_400_tpt_40_dp_ip_CI_sbcc_twdbase8_3step_dirReg
	.p2align	8
	.type	fft_rtc_back_len200_factors_5_8_5_wgs_400_tpt_40_dp_ip_CI_sbcc_twdbase8_3step_dirReg,@function
fft_rtc_back_len200_factors_5_8_5_wgs_400_tpt_40_dp_ip_CI_sbcc_twdbase8_3step_dirReg: ; @fft_rtc_back_len200_factors_5_8_5_wgs_400_tpt_40_dp_ip_CI_sbcc_twdbase8_3step_dirReg
; %bb.0:
	s_load_b128 s[12:15], s[0:1], 0x18
	s_mov_b32 s19, 0
	s_mov_b32 s2, 0x99986000
	s_movk_i32 s3, 0x59
	s_mov_b32 s18, s19
	s_mov_b64 s[26:27], 0
	s_add_nc_u64 s[4:5], s[18:19], s[2:3]
	s_delay_alu instid0(SALU_CYCLE_1) | instskip(NEXT) | instid1(SALU_CYCLE_1)
	s_add_co_i32 s5, s5, 0x19999940
	s_mul_u64 s[6:7], s[4:5], -10
	s_delay_alu instid0(SALU_CYCLE_1)
	s_mul_hi_u32 s9, s4, s7
	s_mul_i32 s8, s4, s7
	s_mul_hi_u32 s18, s4, s6
	s_mul_i32 s11, s5, s6
	s_add_nc_u64 s[8:9], s[18:19], s[8:9]
	s_mul_hi_u32 s10, s5, s6
	s_mul_hi_u32 s16, s5, s7
	s_mul_i32 s6, s5, s7
	s_wait_kmcnt 0x0
	s_load_b64 s[2:3], s[12:13], 0x8
	s_add_co_u32 s7, s8, s11
	s_add_co_ci_u32 s18, s9, s10
	s_add_co_ci_u32 s7, s16, 0
	s_delay_alu instid0(SALU_CYCLE_1) | instskip(NEXT) | instid1(SALU_CYCLE_1)
	s_add_nc_u64 s[6:7], s[18:19], s[6:7]
	v_add_co_u32 v1, s4, s4, s6
	s_delay_alu instid0(VALU_DEP_1) | instskip(SKIP_1) | instid1(VALU_DEP_1)
	s_cmp_lg_u32 s4, 0
	s_add_co_ci_u32 s8, s5, s7
	v_readfirstlane_b32 s9, v1
	s_wait_kmcnt 0x0
	s_add_nc_u64 s[4:5], s[2:3], -1
	s_wait_alu 0xfffe
	s_mul_hi_u32 s7, s4, s8
	s_mul_i32 s6, s4, s8
	s_mul_hi_u32 s18, s4, s9
	s_mul_hi_u32 s11, s5, s9
	s_mul_i32 s9, s5, s9
	s_wait_alu 0xfffe
	s_add_nc_u64 s[6:7], s[18:19], s[6:7]
	s_mul_hi_u32 s10, s5, s8
	s_wait_alu 0xfffe
	s_add_co_u32 s6, s6, s9
	s_add_co_ci_u32 s18, s7, s11
	s_mul_i32 s8, s5, s8
	s_add_co_ci_u32 s9, s10, 0
	s_delay_alu instid0(SALU_CYCLE_1) | instskip(SKIP_3) | instid1(SALU_CYCLE_1)
	s_add_nc_u64 s[6:7], s[18:19], s[8:9]
	s_mov_b32 s18, ttmp9
	s_wait_alu 0xfffe
	s_mul_u64 s[8:9], s[6:7], 10
	v_sub_co_u32 v1, s4, s4, s8
	s_delay_alu instid0(VALU_DEP_1) | instskip(SKIP_1) | instid1(VALU_DEP_1)
	s_cmp_lg_u32 s4, 0
	s_sub_co_ci_u32 s10, s5, s9
	v_sub_co_u32 v2, s8, v1, 10
	s_delay_alu instid0(VALU_DEP_1) | instskip(SKIP_2) | instid1(VALU_DEP_2)
	s_cmp_lg_u32 s8, 0
	v_readfirstlane_b32 s16, v1
	s_sub_co_ci_u32 s8, s10, 0
	v_readfirstlane_b32 s4, v2
	s_delay_alu instid0(VALU_DEP_1)
	s_cmp_gt_u32 s4, 9
	s_add_nc_u64 s[4:5], s[6:7], 1
	s_cselect_b32 s11, -1, 0
	s_wait_alu 0xfffe
	s_cmp_eq_u32 s8, 0
	s_add_nc_u64 s[8:9], s[6:7], 2
	s_cselect_b32 s11, s11, -1
	s_delay_alu instid0(SALU_CYCLE_1)
	s_cmp_lg_u32 s11, 0
	s_wait_alu 0xfffe
	s_cselect_b32 s4, s8, s4
	s_cselect_b32 s5, s9, s5
	s_cmp_gt_u32 s16, 9
	s_cselect_b32 s8, -1, 0
	s_cmp_eq_u32 s10, 0
	s_wait_alu 0xfffe
	s_cselect_b32 s8, s8, -1
	s_wait_alu 0xfffe
	s_cmp_lg_u32 s8, 0
	s_cselect_b32 s5, s5, s7
	s_cselect_b32 s4, s4, s6
	s_wait_alu 0xfffe
	s_add_nc_u64 s[20:21], s[4:5], 1
	s_delay_alu instid0(SALU_CYCLE_1) | instskip(NEXT) | instid1(VALU_DEP_1)
	v_cmp_lt_u64_e64 s4, s[18:19], s[20:21]
	s_and_b32 vcc_lo, exec_lo, s4
	s_cbranch_vccnz .LBB0_2
; %bb.1:
	v_cvt_f32_u32_e32 v1, s20
	s_sub_co_i32 s5, 0, s20
	s_mov_b32 s27, s19
	s_delay_alu instid0(VALU_DEP_1) | instskip(NEXT) | instid1(TRANS32_DEP_1)
	v_rcp_iflag_f32_e32 v1, v1
	v_mul_f32_e32 v1, 0x4f7ffffe, v1
	s_delay_alu instid0(VALU_DEP_1) | instskip(NEXT) | instid1(VALU_DEP_1)
	v_cvt_u32_f32_e32 v1, v1
	v_readfirstlane_b32 s4, v1
	s_wait_alu 0xfffe
	s_delay_alu instid0(VALU_DEP_1)
	s_mul_i32 s5, s5, s4
	s_wait_alu 0xfffe
	s_mul_hi_u32 s5, s4, s5
	s_wait_alu 0xfffe
	s_add_co_i32 s4, s4, s5
	s_wait_alu 0xfffe
	s_mul_hi_u32 s4, s18, s4
	s_wait_alu 0xfffe
	s_mul_i32 s5, s4, s20
	s_add_co_i32 s6, s4, 1
	s_wait_alu 0xfffe
	s_sub_co_i32 s5, s18, s5
	s_wait_alu 0xfffe
	s_sub_co_i32 s7, s5, s20
	s_cmp_ge_u32 s5, s20
	s_cselect_b32 s4, s6, s4
	s_wait_alu 0xfffe
	s_cselect_b32 s5, s7, s5
	s_add_co_i32 s6, s4, 1
	s_wait_alu 0xfffe
	s_cmp_ge_u32 s5, s20
	s_cselect_b32 s26, s6, s4
.LBB0_2:
	s_load_b128 s[8:11], s[0:1], 0x8
	s_load_b128 s[4:7], s[14:15], 0x0
	s_load_b64 s[16:17], s[0:1], 0x0
	s_mul_u64 s[22:23], s[26:27], s[20:21]
	s_delay_alu instid0(SALU_CYCLE_1) | instskip(NEXT) | instid1(SALU_CYCLE_1)
	s_sub_nc_u64 s[22:23], s[18:19], s[22:23]
	s_mul_u64 s[24:25], s[22:23], 10
	s_wait_kmcnt 0x0
	v_cmp_lt_u64_e64 s28, s[10:11], 3
	s_mul_u64 s[22:23], s[6:7], s[24:25]
	s_delay_alu instid0(VALU_DEP_1)
	s_and_b32 vcc_lo, exec_lo, s28
	s_cbranch_vccnz .LBB0_12
; %bb.3:
	s_add_nc_u64 s[28:29], s[14:15], 16
	s_add_nc_u64 s[12:13], s[12:13], 16
	s_mov_b64 s[30:31], 2
	s_mov_b32 s34, 0
.LBB0_4:                                ; =>This Inner Loop Header: Depth=1
	s_load_b64 s[36:37], s[12:13], 0x0
                                        ; implicit-def: $sgpr40_sgpr41
	s_wait_kmcnt 0x0
	s_or_b64 s[38:39], s[26:27], s[36:37]
	s_delay_alu instid0(SALU_CYCLE_1)
	s_mov_b32 s35, s39
	s_mov_b32 s39, -1
	s_cmp_lg_u64 s[34:35], 0
	s_cbranch_scc0 .LBB0_6
; %bb.5:                                ;   in Loop: Header=BB0_4 Depth=1
	s_cvt_f32_u32 s33, s36
	s_cvt_f32_u32 s35, s37
	s_sub_nc_u64 s[42:43], 0, s[36:37]
	s_mov_b32 s39, 0
	s_mov_b32 s47, s34
	s_wait_alu 0xfffe
	s_fmamk_f32 s33, s35, 0x4f800000, s33
	s_wait_alu 0xfffe
	s_delay_alu instid0(SALU_CYCLE_2) | instskip(NEXT) | instid1(TRANS32_DEP_1)
	v_s_rcp_f32 s33, s33
	s_mul_f32 s33, s33, 0x5f7ffffc
	s_wait_alu 0xfffe
	s_delay_alu instid0(SALU_CYCLE_2) | instskip(NEXT) | instid1(SALU_CYCLE_3)
	s_mul_f32 s35, s33, 0x2f800000
	s_trunc_f32 s35, s35
	s_delay_alu instid0(SALU_CYCLE_3) | instskip(SKIP_2) | instid1(SALU_CYCLE_1)
	s_fmamk_f32 s33, s35, 0xcf800000, s33
	s_cvt_u32_f32 s41, s35
	s_wait_alu 0xfffe
	s_cvt_u32_f32 s40, s33
	s_wait_alu 0xfffe
	s_delay_alu instid0(SALU_CYCLE_2)
	s_mul_u64 s[44:45], s[42:43], s[40:41]
	s_wait_alu 0xfffe
	s_mul_hi_u32 s49, s40, s45
	s_mul_i32 s48, s40, s45
	s_mul_hi_u32 s38, s40, s44
	s_mul_i32 s35, s41, s44
	s_add_nc_u64 s[48:49], s[38:39], s[48:49]
	s_mul_hi_u32 s33, s41, s44
	s_mul_hi_u32 s50, s41, s45
	s_add_co_u32 s35, s48, s35
	s_wait_alu 0xfffe
	s_add_co_ci_u32 s46, s49, s33
	s_mul_i32 s44, s41, s45
	s_add_co_ci_u32 s45, s50, 0
	s_wait_alu 0xfffe
	s_add_nc_u64 s[44:45], s[46:47], s[44:45]
	s_wait_alu 0xfffe
	v_add_co_u32 v1, s33, s40, s44
	s_delay_alu instid0(VALU_DEP_1) | instskip(SKIP_1) | instid1(VALU_DEP_1)
	s_cmp_lg_u32 s33, 0
	s_add_co_ci_u32 s41, s41, s45
	v_readfirstlane_b32 s40, v1
	s_mov_b32 s45, s34
	s_wait_alu 0xfffe
	s_delay_alu instid0(VALU_DEP_1)
	s_mul_u64 s[42:43], s[42:43], s[40:41]
	s_wait_alu 0xfffe
	s_mul_hi_u32 s47, s40, s43
	s_mul_i32 s46, s40, s43
	s_mul_hi_u32 s38, s40, s42
	s_mul_i32 s35, s41, s42
	s_add_nc_u64 s[46:47], s[38:39], s[46:47]
	s_mul_hi_u32 s33, s41, s42
	s_mul_hi_u32 s40, s41, s43
	s_add_co_u32 s35, s46, s35
	s_wait_alu 0xfffe
	s_add_co_ci_u32 s44, s47, s33
	s_mul_i32 s42, s41, s43
	s_add_co_ci_u32 s43, s40, 0
	s_wait_alu 0xfffe
	s_add_nc_u64 s[42:43], s[44:45], s[42:43]
	s_wait_alu 0xfffe
	v_add_co_u32 v1, s33, v1, s42
	s_delay_alu instid0(VALU_DEP_1) | instskip(SKIP_1) | instid1(VALU_DEP_1)
	s_cmp_lg_u32 s33, 0
	s_add_co_ci_u32 s33, s41, s43
	v_readfirstlane_b32 s35, v1
	s_wait_alu 0xfffe
	s_mul_hi_u32 s41, s26, s33
	s_mul_i32 s40, s26, s33
	s_mul_hi_u32 s43, s27, s33
	s_mul_i32 s42, s27, s33
	;; [unrolled: 2-line block ×3, first 2 shown]
	s_wait_alu 0xfffe
	s_add_nc_u64 s[40:41], s[38:39], s[40:41]
	s_mul_hi_u32 s35, s27, s35
	s_wait_alu 0xfffe
	s_add_co_u32 s33, s40, s33
	s_add_co_ci_u32 s44, s41, s35
	s_add_co_ci_u32 s43, s43, 0
	s_wait_alu 0xfffe
	s_add_nc_u64 s[40:41], s[44:45], s[42:43]
	s_wait_alu 0xfffe
	s_mul_u64 s[42:43], s[36:37], s[40:41]
	s_add_nc_u64 s[44:45], s[40:41], 1
	s_wait_alu 0xfffe
	v_sub_co_u32 v1, s33, s26, s42
	s_sub_co_i32 s35, s27, s43
	s_cmp_lg_u32 s33, 0
	s_add_nc_u64 s[46:47], s[40:41], 2
	s_delay_alu instid0(VALU_DEP_1) | instskip(SKIP_2) | instid1(VALU_DEP_1)
	v_sub_co_u32 v2, s38, v1, s36
	s_sub_co_ci_u32 s35, s35, s37
	s_cmp_lg_u32 s38, 0
	v_readfirstlane_b32 s38, v2
	s_sub_co_ci_u32 s35, s35, 0
	s_delay_alu instid0(SALU_CYCLE_1) | instskip(SKIP_1) | instid1(VALU_DEP_1)
	s_cmp_ge_u32 s35, s37
	s_cselect_b32 s42, -1, 0
	s_cmp_ge_u32 s38, s36
	s_cselect_b32 s38, -1, 0
	s_cmp_eq_u32 s35, s37
	s_wait_alu 0xfffe
	s_cselect_b32 s35, s38, s42
	s_delay_alu instid0(SALU_CYCLE_1)
	s_cmp_lg_u32 s35, 0
	s_cselect_b32 s35, s46, s44
	s_cselect_b32 s38, s47, s45
	s_cmp_lg_u32 s33, 0
	v_readfirstlane_b32 s33, v1
	s_sub_co_ci_u32 s42, s27, s43
	s_wait_alu 0xfffe
	s_cmp_ge_u32 s42, s37
	s_cselect_b32 s43, -1, 0
	s_cmp_ge_u32 s33, s36
	s_cselect_b32 s33, -1, 0
	s_cmp_eq_u32 s42, s37
	s_wait_alu 0xfffe
	s_cselect_b32 s33, s33, s43
	s_wait_alu 0xfffe
	s_cmp_lg_u32 s33, 0
	s_cselect_b32 s41, s38, s41
	s_cselect_b32 s40, s35, s40
.LBB0_6:                                ;   in Loop: Header=BB0_4 Depth=1
	s_and_not1_b32 vcc_lo, exec_lo, s39
	s_cbranch_vccnz .LBB0_8
; %bb.7:                                ;   in Loop: Header=BB0_4 Depth=1
	v_cvt_f32_u32_e32 v1, s36
	s_sub_co_i32 s35, 0, s36
	s_mov_b32 s41, s34
	s_delay_alu instid0(VALU_DEP_1) | instskip(NEXT) | instid1(TRANS32_DEP_1)
	v_rcp_iflag_f32_e32 v1, v1
	v_mul_f32_e32 v1, 0x4f7ffffe, v1
	s_delay_alu instid0(VALU_DEP_1) | instskip(NEXT) | instid1(VALU_DEP_1)
	v_cvt_u32_f32_e32 v1, v1
	v_readfirstlane_b32 s33, v1
	s_delay_alu instid0(VALU_DEP_1) | instskip(NEXT) | instid1(SALU_CYCLE_1)
	s_mul_i32 s35, s35, s33
	s_mul_hi_u32 s35, s33, s35
	s_delay_alu instid0(SALU_CYCLE_1)
	s_add_co_i32 s33, s33, s35
	s_wait_alu 0xfffe
	s_mul_hi_u32 s33, s26, s33
	s_wait_alu 0xfffe
	s_mul_i32 s35, s33, s36
	s_add_co_i32 s38, s33, 1
	s_sub_co_i32 s35, s26, s35
	s_delay_alu instid0(SALU_CYCLE_1)
	s_sub_co_i32 s39, s35, s36
	s_cmp_ge_u32 s35, s36
	s_cselect_b32 s33, s38, s33
	s_cselect_b32 s35, s39, s35
	s_wait_alu 0xfffe
	s_add_co_i32 s38, s33, 1
	s_cmp_ge_u32 s35, s36
	s_cselect_b32 s40, s38, s33
.LBB0_8:                                ;   in Loop: Header=BB0_4 Depth=1
	s_load_b64 s[38:39], s[28:29], 0x0
	s_add_nc_u64 s[30:31], s[30:31], 1
	s_mul_u64 s[20:21], s[36:37], s[20:21]
	s_wait_alu 0xfffe
	v_cmp_ge_u64_e64 s33, s[30:31], s[10:11]
	s_mul_u64 s[36:37], s[40:41], s[36:37]
	s_add_nc_u64 s[28:29], s[28:29], 8
	s_wait_alu 0xfffe
	s_sub_nc_u64 s[26:27], s[26:27], s[36:37]
	s_add_nc_u64 s[12:13], s[12:13], 8
	s_and_b32 vcc_lo, exec_lo, s33
	s_wait_kmcnt 0x0
	s_wait_alu 0xfffe
	s_mul_u64 s[26:27], s[38:39], s[26:27]
	s_wait_alu 0xfffe
	s_add_nc_u64 s[22:23], s[26:27], s[22:23]
	s_cbranch_vccnz .LBB0_10
; %bb.9:                                ;   in Loop: Header=BB0_4 Depth=1
	s_mov_b64 s[26:27], s[40:41]
	s_branch .LBB0_4
.LBB0_10:
	v_cmp_lt_u64_e64 s12, s[18:19], s[20:21]
	s_mov_b64 s[26:27], 0
	s_delay_alu instid0(VALU_DEP_1)
	s_and_b32 vcc_lo, exec_lo, s12
	s_cbranch_vccnz .LBB0_12
; %bb.11:
	v_cvt_f32_u32_e32 v1, s20
	s_sub_co_i32 s13, 0, s20
	s_mov_b32 s27, 0
	s_delay_alu instid0(VALU_DEP_1) | instskip(NEXT) | instid1(TRANS32_DEP_1)
	v_rcp_iflag_f32_e32 v1, v1
	v_mul_f32_e32 v1, 0x4f7ffffe, v1
	s_delay_alu instid0(VALU_DEP_1) | instskip(NEXT) | instid1(VALU_DEP_1)
	v_cvt_u32_f32_e32 v1, v1
	v_readfirstlane_b32 s12, v1
	s_delay_alu instid0(VALU_DEP_1) | instskip(NEXT) | instid1(SALU_CYCLE_1)
	s_mul_i32 s13, s13, s12
	s_mul_hi_u32 s13, s12, s13
	s_delay_alu instid0(SALU_CYCLE_1) | instskip(NEXT) | instid1(SALU_CYCLE_1)
	s_add_co_i32 s12, s12, s13
	s_mul_hi_u32 s12, s18, s12
	s_delay_alu instid0(SALU_CYCLE_1) | instskip(NEXT) | instid1(SALU_CYCLE_1)
	s_mul_i32 s13, s12, s20
	s_sub_co_i32 s13, s18, s13
	s_add_co_i32 s18, s12, 1
	s_sub_co_i32 s19, s13, s20
	s_cmp_ge_u32 s13, s20
	s_wait_alu 0xfffe
	s_cselect_b32 s12, s18, s12
	s_cselect_b32 s13, s19, s13
	s_add_co_i32 s18, s12, 1
	s_cmp_ge_u32 s13, s20
	s_wait_alu 0xfffe
	s_cselect_b32 s26, s18, s12
.LBB0_12:
	v_mul_u32_u24_e32 v1, 0x199a, v0
	s_lshl_b64 s[10:11], s[10:11], 3
	s_load_b64 s[0:1], s[0:1], 0x58
	s_add_nc_u64 s[10:11], s[14:15], s[10:11]
                                        ; implicit-def: $vgpr11_vgpr12
                                        ; implicit-def: $vgpr7_vgpr8
                                        ; implicit-def: $vgpr3_vgpr4
                                        ; implicit-def: $vgpr15_vgpr16
                                        ; implicit-def: $vgpr19_vgpr20
	s_load_b64 s[10:11], s[10:11], 0x0
	v_lshrrev_b32_e32 v36, 16, v1
	s_delay_alu instid0(VALU_DEP_1) | instskip(NEXT) | instid1(VALU_DEP_1)
	v_mul_lo_u16 v1, v36, 10
	v_sub_nc_u16 v1, v0, v1
	s_delay_alu instid0(VALU_DEP_1) | instskip(NEXT) | instid1(VALU_DEP_1)
	v_and_b32_e32 v35, 0xffff, v1
                                        ; kill: def $vgpr1_vgpr2 killed $sgpr0_sgpr1 killed $exec
	v_add_co_u32 v33, s12, s24, v35
	s_delay_alu instid0(VALU_DEP_1) | instskip(SKIP_3) | instid1(VALU_DEP_2)
	v_add_co_ci_u32_e64 v34, null, s25, 0, s12
	s_add_nc_u64 s[12:13], s[24:25], 10
	s_wait_alu 0xfffe
	v_cmp_le_u64_e64 s12, s[12:13], s[2:3]
	v_cmp_gt_u64_e32 vcc_lo, s[2:3], v[33:34]
	s_wait_kmcnt 0x0
	s_mul_u64 s[2:3], s[10:11], s[26:27]
	s_wait_alu 0xfffe
	s_add_nc_u64 s[2:3], s[2:3], s[22:23]
	s_or_b32 s10, s12, vcc_lo
	s_wait_alu 0xfffe
	s_and_saveexec_b32 s11, s10
	s_cbranch_execz .LBB0_14
; %bb.13:
	v_mad_co_u64_u32 v[1:2], null, s6, v35, 0
	v_mad_co_u64_u32 v[3:4], null, s4, v36, 0
	v_add_nc_u32_e32 v12, 40, v36
	v_add_nc_u32_e32 v14, 0x50, v36
	;; [unrolled: 1-line block ×3, first 2 shown]
	s_lshl_b64 s[12:13], s[2:3], 4
	s_delay_alu instid0(VALU_DEP_3)
	v_mad_co_u64_u32 v[5:6], null, s4, v12, 0
	v_mad_co_u64_u32 v[7:8], null, s7, v35, v[2:3]
	;; [unrolled: 1-line block ×3, first 2 shown]
	v_add_nc_u32_e32 v17, 0xa0, v36
	s_wait_alu 0xfffe
	s_add_nc_u64 s[12:13], s[0:1], s[12:13]
	s_delay_alu instid0(VALU_DEP_4) | instskip(SKIP_3) | instid1(VALU_DEP_3)
	v_mad_co_u64_u32 v[10:11], null, s5, v36, v[4:5]
	v_mov_b32_e32 v4, v6
	v_mov_b32_e32 v2, v7
	;; [unrolled: 1-line block ×3, first 2 shown]
	v_mad_co_u64_u32 v[11:12], null, s5, v12, v[4:5]
	s_delay_alu instid0(VALU_DEP_3)
	v_lshlrev_b64_e32 v[1:2], 4, v[1:2]
	v_mad_co_u64_u32 v[12:13], null, s4, v16, 0
	v_mov_b32_e32 v4, v10
	v_mad_co_u64_u32 v[9:10], null, s5, v14, v[6:7]
	v_mad_co_u64_u32 v[14:15], null, s4, v17, 0
	s_wait_alu 0xfffe
	v_add_co_u32 v18, vcc_lo, s12, v1
	v_add_co_ci_u32_e32 v19, vcc_lo, s13, v2, vcc_lo
	v_lshlrev_b64_e32 v[2:3], 4, v[3:4]
	v_dual_mov_b32 v1, v13 :: v_dual_mov_b32 v6, v11
	s_delay_alu instid0(VALU_DEP_1) | instskip(SKIP_2) | instid1(VALU_DEP_4)
	v_mad_co_u64_u32 v[10:11], null, s5, v16, v[1:2]
	v_mov_b32_e32 v1, v15
	v_add_co_u32 v2, vcc_lo, v18, v2
	v_lshlrev_b64_e32 v[4:5], 4, v[5:6]
	s_wait_alu 0xfffd
	v_add_co_ci_u32_e32 v3, vcc_lo, v19, v3, vcc_lo
	s_delay_alu instid0(VALU_DEP_3)
	v_mad_co_u64_u32 v[6:7], null, s5, v17, v[1:2]
	v_mov_b32_e32 v13, v10
	v_lshlrev_b64_e32 v[7:8], 4, v[8:9]
	v_add_co_u32 v4, vcc_lo, v18, v4
	s_wait_alu 0xfffd
	v_add_co_ci_u32_e32 v5, vcc_lo, v19, v5, vcc_lo
	v_mov_b32_e32 v15, v6
	v_lshlrev_b64_e32 v[9:10], 4, v[12:13]
	v_add_co_u32 v6, vcc_lo, v18, v7
	s_wait_alu 0xfffd
	v_add_co_ci_u32_e32 v7, vcc_lo, v19, v8, vcc_lo
	v_lshlrev_b64_e32 v[11:12], 4, v[14:15]
	s_delay_alu instid0(VALU_DEP_4) | instskip(SKIP_2) | instid1(VALU_DEP_3)
	v_add_co_u32 v21, vcc_lo, v18, v9
	s_wait_alu 0xfffd
	v_add_co_ci_u32_e32 v22, vcc_lo, v19, v10, vcc_lo
	v_add_co_u32 v23, vcc_lo, v18, v11
	s_wait_alu 0xfffd
	v_add_co_ci_u32_e32 v24, vcc_lo, v19, v12, vcc_lo
	s_clause 0x4
	global_load_b128 v[17:20], v[2:3], off
	global_load_b128 v[9:12], v[4:5], off
	;; [unrolled: 1-line block ×5, first 2 shown]
.LBB0_14:
	s_wait_alu 0xfffe
	s_or_b32 exec_lo, exec_lo, s11
	s_wait_loadcnt 0x1
	v_add_f64_e32 v[21:22], v[5:6], v[13:14]
	s_wait_loadcnt 0x0
	v_add_f64_e32 v[23:24], v[9:10], v[1:2]
	v_add_f64_e32 v[25:26], v[7:8], v[15:16]
	;; [unrolled: 1-line block ×4, first 2 shown]
	v_add_f64_e64 v[31:32], v[11:12], -v[3:4]
	v_add_f64_e64 v[37:38], v[15:16], -v[7:8]
	v_add_f64_e32 v[39:40], v[11:12], v[19:20]
	v_add_f64_e64 v[41:42], v[9:10], -v[1:2]
	s_mov_b32 s12, 0x134454ff
	s_mov_b32 s13, 0xbfee6f0e
	;; [unrolled: 1-line block ×3, first 2 shown]
	s_wait_alu 0xfffe
	s_mov_b32 s14, s12
	v_add_f64_e64 v[43:44], v[1:2], -v[5:6]
	v_add_f64_e64 v[45:46], v[5:6], -v[1:2]
	;; [unrolled: 1-line block ×6, first 2 shown]
	v_cmp_gt_u32_e32 vcc_lo, 0xfa, v0
	v_lshlrev_b32_e32 v34, 4, v35
	v_fma_f64 v[21:22], v[21:22], -0.5, v[17:18]
	v_fma_f64 v[17:18], v[23:24], -0.5, v[17:18]
	v_add_f64_e64 v[23:24], v[13:14], -v[5:6]
	v_fma_f64 v[25:26], v[25:26], -0.5, v[19:20]
	v_fma_f64 v[19:20], v[27:28], -0.5, v[19:20]
	v_add_f64_e64 v[27:28], v[9:10], -v[13:14]
	v_add_f64_e64 v[9:10], v[13:14], -v[9:10]
	v_add_f64_e32 v[13:14], v[13:14], v[29:30]
	v_add_f64_e32 v[15:16], v[15:16], v[39:40]
	v_fma_f64 v[29:30], v[31:32], s[12:13], v[21:22]
	v_fma_f64 v[21:22], v[31:32], s[14:15], v[21:22]
	;; [unrolled: 1-line block ×8, first 2 shown]
	s_mov_b32 s12, 0x4755a5e
	s_mov_b32 s13, 0xbfe2cf23
	;; [unrolled: 1-line block ×3, first 2 shown]
	s_wait_alu 0xfffe
	s_mov_b32 s14, s12
	v_add_f64_e32 v[27:28], v[43:44], v[27:28]
	v_add_f64_e32 v[43:44], v[45:46], v[9:10]
	;; [unrolled: 1-line block ×6, first 2 shown]
	v_fma_f64 v[9:10], v[37:38], s[12:13], v[29:30]
	s_wait_alu 0xfffe
	v_fma_f64 v[11:12], v[37:38], s[14:15], v[21:22]
	v_fma_f64 v[13:14], v[31:32], s[12:13], v[39:40]
	;; [unrolled: 1-line block ×7, first 2 shown]
	s_mov_b32 s12, 0x372fe950
	s_mov_b32 s13, 0x3fd3c6ef
                                        ; implicit-def: $vgpr31_vgpr32
	v_add_f64_e32 v[1:2], v[1:2], v[5:6]
	v_add_f64_e32 v[3:4], v[3:4], v[7:8]
	s_wait_alu 0xfffe
	v_fma_f64 v[5:6], v[27:28], s[12:13], v[9:10]
	v_fma_f64 v[17:18], v[27:28], s[12:13], v[11:12]
	;; [unrolled: 1-line block ×8, first 2 shown]
	v_mad_u32_u24 v21, 0x320, v36, 0
                                        ; kill: def $vgpr22_vgpr23 killed $sgpr0_sgpr1 killed $exec
                                        ; implicit-def: $vgpr27_vgpr28
	s_delay_alu instid0(VALU_DEP_1)
	v_lshl_add_u32 v24, v35, 4, v21
	ds_store_b128 v24, v[1:4]
	ds_store_b128 v24, v[5:8] offset:160
	ds_store_b128 v24, v[9:12] offset:320
	;; [unrolled: 1-line block ×4, first 2 shown]
	global_wb scope:SCOPE_SE
	s_wait_dscnt 0x0
	s_barrier_signal -1
	s_barrier_wait -1
	global_inv scope:SCOPE_SE
                                        ; implicit-def: $vgpr23_vgpr24
	s_and_saveexec_b32 s11, vcc_lo
	s_cbranch_execz .LBB0_16
; %bb.15:
	v_mul_i32_i24_e32 v1, 0xfffffd80, v36
	s_delay_alu instid0(VALU_DEP_1)
	v_add3_u32 v29, v21, v1, v34
	ds_load_b128 v[1:4], v29
	ds_load_b128 v[5:8], v29 offset:4000
	ds_load_b128 v[9:12], v29 offset:8000
	;; [unrolled: 1-line block ×7, first 2 shown]
.LBB0_16:
	s_wait_alu 0xfffe
	s_or_b32 exec_lo, exec_lo, s11
	global_wb scope:SCOPE_SE
	s_wait_dscnt 0x0
	s_barrier_signal -1
	s_barrier_wait -1
	global_inv scope:SCOPE_SE
	s_and_saveexec_b32 s11, vcc_lo
	s_cbranch_execz .LBB0_18
; %bb.17:
	v_mul_lo_u16 v37, v36, 52
	s_mov_b32 s12, 0x667f3bcd
	s_mov_b32 s13, 0x3fe6a09e
	;; [unrolled: 1-line block ×3, first 2 shown]
	s_wait_alu 0xfffe
	s_mov_b32 s14, s12
	v_lshrrev_b16 v79, 8, v37
	s_delay_alu instid0(VALU_DEP_1) | instskip(NEXT) | instid1(VALU_DEP_1)
	v_mul_lo_u16 v37, v79, 5
	v_sub_nc_u16 v37, v36, v37
	s_delay_alu instid0(VALU_DEP_1) | instskip(NEXT) | instid1(VALU_DEP_1)
	v_and_b32_e32 v80, 0xff, v37
	v_mul_u32_u24_e32 v37, 7, v80
	s_delay_alu instid0(VALU_DEP_1)
	v_lshlrev_b32_e32 v61, 4, v37
	s_clause 0x6
	global_load_b128 v[37:40], v61, s[16:17] offset:48
	global_load_b128 v[41:44], v61, s[16:17] offset:16
	;; [unrolled: 1-line block ×3, first 2 shown]
	global_load_b128 v[49:52], v61, s[16:17]
	global_load_b128 v[53:56], v61, s[16:17] offset:64
	global_load_b128 v[57:60], v61, s[16:17] offset:32
	;; [unrolled: 1-line block ×3, first 2 shown]
	s_wait_loadcnt 0x6
	v_mul_f64_e32 v[65:66], v[17:18], v[39:40]
	s_wait_loadcnt 0x5
	v_mul_f64_e32 v[67:68], v[11:12], v[43:44]
	;; [unrolled: 2-line block ×7, first 2 shown]
	v_mul_f64_e32 v[51:52], v[7:8], v[51:52]
	v_mul_f64_e32 v[43:44], v[9:10], v[43:44]
	;; [unrolled: 1-line block ×7, first 2 shown]
	v_fma_f64 v[19:20], v[19:20], v[37:38], -v[65:66]
	v_fma_f64 v[9:10], v[9:10], v[41:42], v[67:68]
	v_fma_f64 v[25:26], v[25:26], v[45:46], v[69:70]
	v_fma_f64 v[7:8], v[7:8], v[49:50], -v[71:72]
	v_fma_f64 v[23:24], v[23:24], v[53:54], -v[73:74]
	v_fma_f64 v[13:14], v[13:14], v[57:58], v[75:76]
	v_fma_f64 v[29:30], v[29:30], v[61:62], v[77:78]
	;; [unrolled: 1-line block ×3, first 2 shown]
	v_fma_f64 v[11:12], v[11:12], v[41:42], -v[43:44]
	v_fma_f64 v[27:28], v[27:28], v[45:46], -v[47:48]
	v_fma_f64 v[21:22], v[21:22], v[53:54], v[55:56]
	v_fma_f64 v[17:18], v[17:18], v[37:38], v[39:40]
	v_fma_f64 v[15:16], v[15:16], v[57:58], -v[59:60]
	v_fma_f64 v[31:32], v[31:32], v[61:62], -v[63:64]
	v_add_f64_e64 v[19:20], v[3:4], -v[19:20]
	v_add_f64_e64 v[25:26], v[9:10], -v[25:26]
	;; [unrolled: 1-line block ×8, first 2 shown]
	v_fma_f64 v[3:4], v[3:4], 2.0, -v[19:20]
	v_add_f64_e64 v[37:38], v[19:20], -v[25:26]
	v_fma_f64 v[9:10], v[9:10], 2.0, -v[25:26]
	v_fma_f64 v[7:8], v[7:8], 2.0, -v[23:24]
	v_add_f64_e64 v[39:40], v[23:24], -v[29:30]
	v_fma_f64 v[13:14], v[13:14], 2.0, -v[29:30]
	v_fma_f64 v[11:12], v[11:12], 2.0, -v[27:28]
	;; [unrolled: 1-line block ×4, first 2 shown]
	v_add_f64_e32 v[27:28], v[17:18], v[27:28]
	v_fma_f64 v[15:16], v[15:16], 2.0, -v[31:32]
	v_add_f64_e32 v[25:26], v[21:22], v[31:32]
	v_fma_f64 v[31:32], v[19:20], 2.0, -v[37:38]
	v_fma_f64 v[19:20], v[23:24], 2.0, -v[39:40]
	v_add_f64_e64 v[29:30], v[3:4], -v[11:12]
	v_add_f64_e64 v[11:12], v[5:6], -v[13:14]
	;; [unrolled: 1-line block ×3, first 2 shown]
	v_fma_f64 v[43:44], v[17:18], 2.0, -v[27:28]
	v_add_f64_e64 v[13:14], v[7:8], -v[15:16]
	v_fma_f64 v[9:10], v[21:22], 2.0, -v[25:26]
	v_fma_f64 v[15:16], v[39:40], s[12:13], v[37:38]
	v_fma_f64 v[17:18], v[25:26], s[12:13], v[27:28]
	s_wait_alu 0xfffe
	v_fma_f64 v[21:22], v[19:20], s[14:15], v[31:32]
	v_fma_f64 v[45:46], v[3:4], 2.0, -v[29:30]
	v_fma_f64 v[49:50], v[5:6], 2.0, -v[11:12]
	;; [unrolled: 1-line block ×4, first 2 shown]
	v_fma_f64 v[51:52], v[9:10], s[14:15], v[43:44]
	v_add_f64_e64 v[7:8], v[29:30], -v[11:12]
	v_add_f64_e32 v[5:6], v[41:42], v[13:14]
	v_fma_f64 v[3:4], v[25:26], s[14:15], v[15:16]
	v_fma_f64 v[1:2], v[39:40], s[12:13], v[17:18]
	;; [unrolled: 1-line block ×3, first 2 shown]
	v_add_f64_e64 v[13:14], v[47:48], -v[49:50]
	v_add_f64_e64 v[15:16], v[45:46], -v[23:24]
	v_fma_f64 v[9:10], v[19:20], s[12:13], v[51:52]
	v_fma_f64 v[23:24], v[29:30], 2.0, -v[7:8]
	v_fma_f64 v[21:22], v[41:42], 2.0, -v[5:6]
	;; [unrolled: 1-line block ×4, first 2 shown]
	v_and_b32_e32 v37, 0xffff, v79
	s_delay_alu instid0(VALU_DEP_1) | instskip(NEXT) | instid1(VALU_DEP_1)
	v_mul_u32_u24_e32 v37, 40, v37
	v_or_b32_e32 v37, v37, v80
	s_delay_alu instid0(VALU_DEP_1) | instskip(NEXT) | instid1(VALU_DEP_1)
	v_mul_u32_u24_e32 v37, 0xa0, v37
	v_add3_u32 v37, 0, v37, v34
	v_fma_f64 v[27:28], v[31:32], 2.0, -v[11:12]
	v_fma_f64 v[29:30], v[47:48], 2.0, -v[13:14]
	;; [unrolled: 1-line block ×4, first 2 shown]
	ds_store_b128 v37, v[21:24] offset:1600
	ds_store_b128 v37, v[17:20] offset:2400
	;; [unrolled: 1-line block ×4, first 2 shown]
	ds_store_b128 v37, v[29:32]
	ds_store_b128 v37, v[25:28] offset:800
	ds_store_b128 v37, v[5:8] offset:4800
	;; [unrolled: 1-line block ×3, first 2 shown]
.LBB0_18:
	s_wait_alu 0xfffe
	s_or_b32 exec_lo, exec_lo, s11
	global_wb scope:SCOPE_SE
	s_wait_dscnt 0x0
	s_barrier_signal -1
	s_barrier_wait -1
	global_inv scope:SCOPE_SE
	s_and_saveexec_b32 s11, s10
	s_cbranch_execz .LBB0_20
; %bb.19:
	v_mul_lo_u16 v1, v36, 13
	s_mov_b32 s11, 0x3fee6f0e
	v_and_b32_e32 v0, 0xffff, v0
	s_lshl_b64 s[2:3], s[2:3], 4
	s_wait_alu 0xfffe
	s_add_nc_u64 s[0:1], s[0:1], s[2:3]
	v_lshrrev_b16 v1, 9, v1
	v_mul_u32_u24_e32 v0, 0xa4, v0
	s_delay_alu instid0(VALU_DEP_2) | instskip(NEXT) | instid1(VALU_DEP_1)
	v_mul_lo_u16 v1, v1, 40
	v_sub_nc_u16 v1, v36, v1
	v_mul_u32_u24_e32 v36, 0xa0, v36
	s_delay_alu instid0(VALU_DEP_2) | instskip(NEXT) | instid1(VALU_DEP_2)
	v_and_b32_e32 v1, 0xff, v1
	v_add3_u32 v34, 0, v36, v34
	s_delay_alu instid0(VALU_DEP_2)
	v_lshlrev_b32_e32 v14, 6, v1
	v_mul_lo_u32 v89, v33, v1
	v_add_nc_u32_e32 v26, 0xa0, v1
	s_clause 0x3
	global_load_b128 v[2:5], v14, s[16:17] offset:560
	global_load_b128 v[6:9], v14, s[16:17] offset:608
	;; [unrolled: 1-line block ×4, first 2 shown]
	v_mul_lo_u32 v90, v33, v26
	v_add_nc_u32_e32 v26, 0x78, v1
	v_and_b32_e32 v18, 0xff, v89
	v_lshrrev_b32_e32 v19, 4, v89
	s_delay_alu instid0(VALU_DEP_3) | instskip(NEXT) | instid1(VALU_DEP_3)
	v_mul_lo_u32 v91, v33, v26
	v_lshlrev_b32_e32 v18, 4, v18
	s_delay_alu instid0(VALU_DEP_3)
	v_and_b32_e32 v22, 0xff0, v19
	v_and_b32_e32 v26, 0xff, v90
	s_clause 0x1
	global_load_b128 v[18:21], v18, s[8:9]
	global_load_b128 v[22:25], v22, s[8:9] offset:4096
	v_lshrrev_b32_e32 v27, 4, v90
	v_lshlrev_b32_e32 v26, 4, v26
	v_and_b32_e32 v31, 0xff, v91
	v_lshrrev_b32_e32 v32, 4, v91
	s_delay_alu instid0(VALU_DEP_4)
	v_and_b32_e32 v30, 0xff0, v27
	s_clause 0x1
	global_load_b128 v[26:29], v26, s[8:9]
	global_load_b128 v[37:40], v30, s[8:9] offset:4096
	v_lshlrev_b32_e32 v30, 4, v31
	v_and_b32_e32 v31, 0xff0, v32
	s_clause 0x1
	global_load_b128 v[41:44], v30, s[8:9]
	global_load_b128 v[45:48], v31, s[8:9] offset:4096
	v_add_nc_u32_e32 v30, 0x50, v1
	v_add_nc_u32_e32 v31, 40, v1
	s_delay_alu instid0(VALU_DEP_2) | instskip(NEXT) | instid1(VALU_DEP_2)
	v_mul_lo_u32 v92, v33, v30
	v_mul_lo_u32 v93, v33, v31
	s_delay_alu instid0(VALU_DEP_2) | instskip(SKIP_1) | instid1(VALU_DEP_3)
	v_and_b32_e32 v30, 0xff, v92
	v_lshrrev_b32_e32 v31, 4, v92
	v_and_b32_e32 v32, 0xff, v93
	v_lshrrev_b32_e32 v33, 4, v93
	v_lshrrev_b32_e32 v36, 12, v92
	v_lshlrev_b32_e32 v30, 4, v30
	v_and_b32_e32 v49, 0xff0, v31
	v_lshlrev_b32_e32 v53, 4, v32
	v_and_b32_e32 v57, 0xff0, v33
	s_clause 0x3
	global_load_b128 v[30:33], v30, s[8:9]
	global_load_b128 v[49:52], v49, s[8:9] offset:4096
	global_load_b128 v[53:56], v53, s[8:9]
	global_load_b128 v[57:60], v57, s[8:9] offset:4096
	ds_load_b128 v[61:64], v34 offset:6400
	ds_load_b128 v[65:68], v34
	ds_load_b128 v[69:72], v34 offset:25600
	ds_load_b128 v[73:76], v34 offset:12800
	;; [unrolled: 1-line block ×3, first 2 shown]
	v_lshrrev_b32_e32 v34, 12, v90
	v_and_b32_e32 v36, 0xff0, v36
	s_delay_alu instid0(VALU_DEP_2)
	v_and_b32_e32 v34, 0xff0, v34
	s_wait_loadcnt_dscnt 0xd04
	v_mul_f64_e32 v[81:82], v[61:62], v[4:5]
	v_mul_f64_e32 v[4:5], v[63:64], v[4:5]
	s_wait_loadcnt_dscnt 0xc02
	v_mul_f64_e32 v[83:84], v[69:70], v[8:9]
	v_mul_f64_e32 v[8:9], v[71:72], v[8:9]
	;; [unrolled: 3-line block ×3, first 2 shown]
	v_fma_f64 v[81:82], v[63:64], v[2:3], -v[81:82]
	v_fma_f64 v[85:86], v[61:62], v[2:3], v[4:5]
	v_lshrrev_b32_e32 v2, 12, v89
	v_lshrrev_b32_e32 v61, 12, v91
	;; [unrolled: 1-line block ×3, first 2 shown]
	v_fma_f64 v[83:84], v[71:72], v[6:7], -v[83:84]
	v_fma_f64 v[89:90], v[69:70], v[6:7], v[8:9]
	v_and_b32_e32 v2, 0xff0, v2
	v_and_b32_e32 v61, 0xff0, v61
	global_load_b128 v[6:9], v34, s[8:9] offset:8192
	v_and_b32_e32 v34, 0xff0, v62
	v_fma_f64 v[75:76], v[75:76], v[10:11], -v[87:88]
	s_clause 0x2
	global_load_b128 v[2:5], v2, s[8:9] offset:8192
	global_load_b128 v[61:64], v61, s[8:9] offset:8192
	global_load_b128 v[69:72], v36, s[8:9] offset:8192
	v_fma_f64 v[73:74], v[73:74], v[10:11], v[12:13]
	global_load_b128 v[10:13], v34, s[8:9] offset:8192
	s_wait_loadcnt_dscnt 0xf00
	v_mul_f64_e32 v[87:88], v[77:78], v[16:17]
	v_mul_f64_e32 v[16:17], v[79:80], v[16:17]
	s_mov_b32 s8, 0x134454ff
	s_mov_b32 s9, 0xbfee6f0e
	s_wait_alu 0xfffe
	s_mov_b32 s10, s8
	v_lshrrev_b32_e32 v34, 16, v0
	s_delay_alu instid0(VALU_DEP_3) | instskip(NEXT) | instid1(VALU_DEP_3)
	v_fma_f64 v[79:80], v[79:80], v[14:15], -v[87:88]
	v_fma_f64 v[14:15], v[77:78], v[14:15], v[16:17]
	s_wait_loadcnt 0xd
	v_mul_f64_e32 v[16:17], v[20:21], v[24:25]
	v_mul_f64_e32 v[24:25], v[18:19], v[24:25]
	s_wait_loadcnt 0xb
	v_mul_f64_e32 v[77:78], v[28:29], v[39:40]
	v_mul_f64_e32 v[39:40], v[26:27], v[39:40]
	v_add_f64_e64 v[87:88], v[73:74], -v[14:15]
	v_fma_f64 v[16:17], v[18:19], v[22:23], -v[16:17]
	v_fma_f64 v[18:19], v[20:21], v[22:23], v[24:25]
	s_wait_loadcnt 0x9
	v_mul_f64_e32 v[20:21], v[43:44], v[47:48]
	v_mul_f64_e32 v[22:23], v[41:42], v[47:48]
	s_wait_loadcnt 0x7
	v_mul_f64_e32 v[24:25], v[32:33], v[51:52]
	v_mul_f64_e32 v[47:48], v[30:31], v[51:52]
	v_fma_f64 v[26:27], v[26:27], v[37:38], -v[77:78]
	v_fma_f64 v[28:29], v[28:29], v[37:38], v[39:40]
	s_wait_loadcnt 0x5
	v_mul_f64_e32 v[36:37], v[55:56], v[59:60]
	v_mul_f64_e32 v[38:39], v[53:54], v[59:60]
	v_add_f64_e32 v[51:52], v[85:86], v[89:90]
	v_add_f64_e64 v[77:78], v[89:90], -v[14:15]
	v_add_f64_e64 v[91:92], v[14:15], -v[89:90]
	v_fma_f64 v[20:21], v[41:42], v[45:46], -v[20:21]
	v_fma_f64 v[22:23], v[43:44], v[45:46], v[22:23]
	v_add_f64_e32 v[40:41], v[73:74], v[14:15]
	v_add_f64_e32 v[42:43], v[75:76], v[79:80]
	v_add_f64_e32 v[44:45], v[81:82], v[83:84]
	v_fma_f64 v[24:25], v[30:31], v[49:50], -v[24:25]
	v_fma_f64 v[30:31], v[32:33], v[49:50], v[47:48]
	v_fma_f64 v[32:33], v[53:54], v[57:58], -v[36:37]
	v_add_f64_e32 v[36:37], v[67:68], v[81:82]
	v_add_f64_e32 v[46:47], v[65:66], v[85:86]
	v_fma_f64 v[38:39], v[55:56], v[57:58], v[38:39]
	v_add_f64_e64 v[48:49], v[75:76], -v[79:80]
	v_fma_f64 v[50:51], v[51:52], -0.5, v[65:66]
	v_add_f64_e64 v[52:53], v[81:82], -v[75:76]
	v_add_f64_e64 v[54:55], v[83:84], -v[79:80]
	v_add_f64_e64 v[56:57], v[85:86], -v[89:90]
	v_add_f64_e64 v[58:59], v[81:82], -v[83:84]
	v_fma_f64 v[40:41], v[40:41], -0.5, v[65:66]
	v_fma_f64 v[42:43], v[42:43], -0.5, v[67:68]
	v_add_f64_e64 v[65:66], v[85:86], -v[73:74]
	v_fma_f64 v[44:45], v[44:45], -0.5, v[67:68]
	v_add_f64_e64 v[67:68], v[75:76], -v[81:82]
	v_add_f64_e64 v[81:82], v[79:80], -v[83:84]
	v_add_f64_e32 v[36:37], v[36:37], v[75:76]
	v_add_f64_e32 v[46:47], v[46:47], v[73:74]
	v_add_f64_e64 v[85:86], v[73:74], -v[85:86]
	v_fma_f64 v[73:74], v[48:49], s[8:9], v[50:51]
	s_wait_alu 0xfffe
	v_fma_f64 v[50:51], v[48:49], s[10:11], v[50:51]
	v_add_f64_e32 v[52:53], v[52:53], v[54:55]
	v_fma_f64 v[54:55], v[58:59], s[10:11], v[40:41]
	v_fma_f64 v[75:76], v[56:57], s[8:9], v[42:43]
	;; [unrolled: 1-line block ×4, first 2 shown]
	v_add_f64_e32 v[65:66], v[65:66], v[77:78]
	v_fma_f64 v[77:78], v[87:88], s[8:9], v[44:45]
	v_fma_f64 v[44:45], v[87:88], s[10:11], v[44:45]
	s_mov_b32 s8, 0x4755a5e
	s_mov_b32 s9, 0xbfe2cf23
	;; [unrolled: 1-line block ×3, first 2 shown]
	s_wait_alu 0xfffe
	s_mov_b32 s10, s8
	v_add_f64_e32 v[67:68], v[67:68], v[81:82]
	v_add_f64_e32 v[36:37], v[36:37], v[79:80]
	;; [unrolled: 1-line block ×4, first 2 shown]
	s_wait_alu 0xfffe
	v_fma_f64 v[73:74], v[58:59], s[10:11], v[73:74]
	v_fma_f64 v[50:51], v[58:59], s[8:9], v[50:51]
	;; [unrolled: 1-line block ×8, first 2 shown]
	s_mov_b32 s8, 0x372fe950
	s_mov_b32 s9, 0x3fd3c6ef
	v_mad_co_u64_u32 v[56:57], null, s6, v35, 0
	v_add_f64_e32 v[36:37], v[36:37], v[83:84]
	v_add_f64_e32 v[14:15], v[14:15], v[89:90]
	s_wait_alu 0xfffe
	v_fma_f64 v[50:51], v[85:86], s[8:9], v[50:51]
	s_delay_alu instid0(VALU_DEP_4)
	v_mov_b32_e32 v0, v57
	v_fma_f64 v[40:41], v[65:66], s[8:9], v[40:41]
	v_fma_f64 v[42:43], v[52:53], s[8:9], v[42:43]
	;; [unrolled: 1-line block ×4, first 2 shown]
	s_wait_loadcnt 0x4
	v_mul_f64_e32 v[91:92], v[26:27], v[8:9]
	v_mul_f64_e32 v[8:9], v[28:29], v[8:9]
	s_wait_loadcnt 0x3
	v_mul_f64_e32 v[81:82], v[16:17], v[4:5]
	s_wait_loadcnt 0x2
	;; [unrolled: 2-line block ×4, first 2 shown]
	v_mul_f64_e32 v[58:59], v[32:33], v[12:13]
	v_mul_f64_e32 v[4:5], v[18:19], v[4:5]
	;; [unrolled: 1-line block ×5, first 2 shown]
	v_fma_f64 v[28:29], v[6:7], v[28:29], v[91:92]
	v_fma_f64 v[18:19], v[2:3], v[18:19], v[81:82]
	;; [unrolled: 1-line block ×8, first 2 shown]
	v_mul_lo_u16 v52, 0xc8, v34
	v_mad_co_u64_u32 v[34:35], null, s7, v35, v[0:1]
	v_fma_f64 v[12:13], v[10:11], v[32:33], -v[12:13]
	s_delay_alu instid0(VALU_DEP_2) | instskip(NEXT) | instid1(VALU_DEP_1)
	v_dual_mov_b32 v57, v34 :: v_dual_and_b32 v0, 0xffff, v52
	v_add_nc_u32_e32 v65, v1, v0
	v_fma_f64 v[0:1], v[2:3], v[16:17], -v[4:5]
	v_fma_f64 v[4:5], v[6:7], v[26:27], -v[8:9]
	;; [unrolled: 1-line block ×4, first 2 shown]
	v_add_nc_u32_e32 v67, 0x50, v65
	v_add_nc_u32_e32 v66, 40, v65
	;; [unrolled: 1-line block ×3, first 2 shown]
	v_mad_co_u64_u32 v[34:35], null, s4, v65, 0
	v_add_nc_u32_e32 v69, 0xa0, v65
	s_delay_alu instid0(VALU_DEP_4) | instskip(NEXT) | instid1(VALU_DEP_4)
	v_mad_co_u64_u32 v[32:33], null, s4, v66, 0
	v_mad_co_u64_u32 v[52:53], null, s4, v68, 0
	s_delay_alu instid0(VALU_DEP_3) | instskip(SKIP_1) | instid1(VALU_DEP_4)
	v_mad_co_u64_u32 v[60:61], null, s4, v69, 0
	v_mad_co_u64_u32 v[62:63], null, s5, v65, v[35:36]
	;; [unrolled: 1-line block ×3, first 2 shown]
	v_mul_f64_e32 v[2:3], v[14:15], v[18:19]
	v_mul_f64_e32 v[6:7], v[36:37], v[18:19]
	;; [unrolled: 1-line block ×10, first 2 shown]
	v_mad_co_u64_u32 v[38:39], null, s4, v67, 0
	v_lshlrev_b64_e32 v[56:57], 4, v[56:57]
	v_mov_b32_e32 v33, v63
	s_delay_alu instid0(VALU_DEP_3) | instskip(SKIP_2) | instid1(VALU_DEP_3)
	v_mov_b32_e32 v35, v39
	v_mov_b32_e32 v39, v53
	;; [unrolled: 1-line block ×3, first 2 shown]
	v_mad_co_u64_u32 v[64:65], null, s5, v67, v[35:36]
	v_mov_b32_e32 v35, v62
	s_delay_alu instid0(VALU_DEP_4) | instskip(NEXT) | instid1(VALU_DEP_4)
	v_mad_co_u64_u32 v[65:66], null, s5, v68, v[39:40]
	v_mad_co_u64_u32 v[66:67], null, s5, v69, v[53:54]
	s_delay_alu instid0(VALU_DEP_4) | instskip(NEXT) | instid1(VALU_DEP_3)
	v_mov_b32_e32 v39, v64
	v_mov_b32_e32 v53, v65
	s_delay_alu instid0(VALU_DEP_3)
	v_mov_b32_e32 v61, v66
	v_fma_f64 v[2:3], v[36:37], v[0:1], -v[2:3]
	v_fma_f64 v[0:1], v[14:15], v[0:1], v[6:7]
	v_fma_f64 v[14:15], v[48:49], v[20:21], -v[24:25]
	v_lshlrev_b64_e32 v[24:25], 4, v[38:39]
	v_fma_f64 v[6:7], v[54:55], v[4:5], -v[10:11]
	v_fma_f64 v[4:5], v[46:47], v[4:5], v[16:17]
	v_fma_f64 v[10:11], v[44:45], v[8:9], -v[18:19]
	v_fma_f64 v[18:19], v[42:43], v[12:13], -v[26:27]
	v_fma_f64 v[16:17], v[40:41], v[12:13], v[28:29]
	v_fma_f64 v[12:13], v[50:51], v[20:21], v[30:31]
	;; [unrolled: 1-line block ×3, first 2 shown]
	v_lshlrev_b64_e32 v[20:21], 4, v[34:35]
	v_add_co_u32 v30, vcc_lo, s0, v56
	s_wait_alu 0xfffd
	v_add_co_ci_u32_e32 v31, vcc_lo, s1, v57, vcc_lo
	v_lshlrev_b64_e32 v[22:23], 4, v[32:33]
	s_delay_alu instid0(VALU_DEP_3) | instskip(SKIP_1) | instid1(VALU_DEP_3)
	v_add_co_u32 v20, vcc_lo, v30, v20
	s_wait_alu 0xfffd
	v_add_co_ci_u32_e32 v21, vcc_lo, v31, v21, vcc_lo
	v_lshlrev_b64_e32 v[26:27], 4, v[52:53]
	s_delay_alu instid0(VALU_DEP_4)
	v_add_co_u32 v22, vcc_lo, v30, v22
	s_wait_alu 0xfffd
	v_add_co_ci_u32_e32 v23, vcc_lo, v31, v23, vcc_lo
	v_lshlrev_b64_e32 v[28:29], 4, v[60:61]
	v_add_co_u32 v24, vcc_lo, v30, v24
	s_wait_alu 0xfffd
	v_add_co_ci_u32_e32 v25, vcc_lo, v31, v25, vcc_lo
	v_add_co_u32 v26, vcc_lo, v30, v26
	s_wait_alu 0xfffd
	v_add_co_ci_u32_e32 v27, vcc_lo, v31, v27, vcc_lo
	v_add_co_u32 v28, vcc_lo, v30, v28
	s_wait_alu 0xfffd
	v_add_co_ci_u32_e32 v29, vcc_lo, v31, v29, vcc_lo
	s_clause 0x4
	global_store_b128 v[20:21], v[0:3], off
	global_store_b128 v[22:23], v[16:19], off
	;; [unrolled: 1-line block ×5, first 2 shown]
.LBB0_20:
	s_nop 0
	s_sendmsg sendmsg(MSG_DEALLOC_VGPRS)
	s_endpgm
	.section	.rodata,"a",@progbits
	.p2align	6, 0x0
	.amdhsa_kernel fft_rtc_back_len200_factors_5_8_5_wgs_400_tpt_40_dp_ip_CI_sbcc_twdbase8_3step_dirReg
		.amdhsa_group_segment_fixed_size 0
		.amdhsa_private_segment_fixed_size 0
		.amdhsa_kernarg_size 96
		.amdhsa_user_sgpr_count 2
		.amdhsa_user_sgpr_dispatch_ptr 0
		.amdhsa_user_sgpr_queue_ptr 0
		.amdhsa_user_sgpr_kernarg_segment_ptr 1
		.amdhsa_user_sgpr_dispatch_id 0
		.amdhsa_user_sgpr_private_segment_size 0
		.amdhsa_wavefront_size32 1
		.amdhsa_uses_dynamic_stack 0
		.amdhsa_enable_private_segment 0
		.amdhsa_system_sgpr_workgroup_id_x 1
		.amdhsa_system_sgpr_workgroup_id_y 0
		.amdhsa_system_sgpr_workgroup_id_z 0
		.amdhsa_system_sgpr_workgroup_info 0
		.amdhsa_system_vgpr_workitem_id 0
		.amdhsa_next_free_vgpr 94
		.amdhsa_next_free_sgpr 51
		.amdhsa_reserve_vcc 1
		.amdhsa_float_round_mode_32 0
		.amdhsa_float_round_mode_16_64 0
		.amdhsa_float_denorm_mode_32 3
		.amdhsa_float_denorm_mode_16_64 3
		.amdhsa_fp16_overflow 0
		.amdhsa_workgroup_processor_mode 1
		.amdhsa_memory_ordered 1
		.amdhsa_forward_progress 0
		.amdhsa_round_robin_scheduling 0
		.amdhsa_exception_fp_ieee_invalid_op 0
		.amdhsa_exception_fp_denorm_src 0
		.amdhsa_exception_fp_ieee_div_zero 0
		.amdhsa_exception_fp_ieee_overflow 0
		.amdhsa_exception_fp_ieee_underflow 0
		.amdhsa_exception_fp_ieee_inexact 0
		.amdhsa_exception_int_div_zero 0
	.end_amdhsa_kernel
	.text
.Lfunc_end0:
	.size	fft_rtc_back_len200_factors_5_8_5_wgs_400_tpt_40_dp_ip_CI_sbcc_twdbase8_3step_dirReg, .Lfunc_end0-fft_rtc_back_len200_factors_5_8_5_wgs_400_tpt_40_dp_ip_CI_sbcc_twdbase8_3step_dirReg
                                        ; -- End function
	.section	.AMDGPU.csdata,"",@progbits
; Kernel info:
; codeLenInByte = 5828
; NumSgprs: 53
; NumVgprs: 94
; ScratchSize: 0
; MemoryBound: 1
; FloatMode: 240
; IeeeMode: 1
; LDSByteSize: 0 bytes/workgroup (compile time only)
; SGPRBlocks: 6
; VGPRBlocks: 11
; NumSGPRsForWavesPerEU: 53
; NumVGPRsForWavesPerEU: 94
; Occupancy: 13
; WaveLimiterHint : 1
; COMPUTE_PGM_RSRC2:SCRATCH_EN: 0
; COMPUTE_PGM_RSRC2:USER_SGPR: 2
; COMPUTE_PGM_RSRC2:TRAP_HANDLER: 0
; COMPUTE_PGM_RSRC2:TGID_X_EN: 1
; COMPUTE_PGM_RSRC2:TGID_Y_EN: 0
; COMPUTE_PGM_RSRC2:TGID_Z_EN: 0
; COMPUTE_PGM_RSRC2:TIDIG_COMP_CNT: 0
	.text
	.p2alignl 7, 3214868480
	.fill 96, 4, 3214868480
	.type	__hip_cuid_edcd61d30936823e,@object ; @__hip_cuid_edcd61d30936823e
	.section	.bss,"aw",@nobits
	.globl	__hip_cuid_edcd61d30936823e
__hip_cuid_edcd61d30936823e:
	.byte	0                               ; 0x0
	.size	__hip_cuid_edcd61d30936823e, 1

	.ident	"AMD clang version 19.0.0git (https://github.com/RadeonOpenCompute/llvm-project roc-6.4.0 25133 c7fe45cf4b819c5991fe208aaa96edf142730f1d)"
	.section	".note.GNU-stack","",@progbits
	.addrsig
	.addrsig_sym __hip_cuid_edcd61d30936823e
	.amdgpu_metadata
---
amdhsa.kernels:
  - .args:
      - .actual_access:  read_only
        .address_space:  global
        .offset:         0
        .size:           8
        .value_kind:     global_buffer
      - .address_space:  global
        .offset:         8
        .size:           8
        .value_kind:     global_buffer
      - .offset:         16
        .size:           8
        .value_kind:     by_value
      - .actual_access:  read_only
        .address_space:  global
        .offset:         24
        .size:           8
        .value_kind:     global_buffer
      - .actual_access:  read_only
        .address_space:  global
        .offset:         32
        .size:           8
        .value_kind:     global_buffer
      - .offset:         40
        .size:           8
        .value_kind:     by_value
      - .actual_access:  read_only
        .address_space:  global
        .offset:         48
        .size:           8
        .value_kind:     global_buffer
      - .actual_access:  read_only
        .address_space:  global
        .offset:         56
        .size:           8
        .value_kind:     global_buffer
      - .offset:         64
        .size:           4
        .value_kind:     by_value
      - .actual_access:  read_only
        .address_space:  global
        .offset:         72
        .size:           8
        .value_kind:     global_buffer
      - .actual_access:  read_only
        .address_space:  global
        .offset:         80
        .size:           8
        .value_kind:     global_buffer
      - .address_space:  global
        .offset:         88
        .size:           8
        .value_kind:     global_buffer
    .group_segment_fixed_size: 0
    .kernarg_segment_align: 8
    .kernarg_segment_size: 96
    .language:       OpenCL C
    .language_version:
      - 2
      - 0
    .max_flat_workgroup_size: 400
    .name:           fft_rtc_back_len200_factors_5_8_5_wgs_400_tpt_40_dp_ip_CI_sbcc_twdbase8_3step_dirReg
    .private_segment_fixed_size: 0
    .sgpr_count:     53
    .sgpr_spill_count: 0
    .symbol:         fft_rtc_back_len200_factors_5_8_5_wgs_400_tpt_40_dp_ip_CI_sbcc_twdbase8_3step_dirReg.kd
    .uniform_work_group_size: 1
    .uses_dynamic_stack: false
    .vgpr_count:     94
    .vgpr_spill_count: 0
    .wavefront_size: 32
    .workgroup_processor_mode: 1
amdhsa.target:   amdgcn-amd-amdhsa--gfx1201
amdhsa.version:
  - 1
  - 2
...

	.end_amdgpu_metadata
